;; amdgpu-corpus repo=ROCm/rocFFT kind=compiled arch=gfx1201 opt=O3
	.text
	.amdgcn_target "amdgcn-amd-amdhsa--gfx1201"
	.amdhsa_code_object_version 6
	.protected	fft_rtc_fwd_len39_factors_13_3_wgs_247_tpt_13_halfLds_dp_op_CI_CI_unitstride_sbrr_dirReg ; -- Begin function fft_rtc_fwd_len39_factors_13_3_wgs_247_tpt_13_halfLds_dp_op_CI_CI_unitstride_sbrr_dirReg
	.globl	fft_rtc_fwd_len39_factors_13_3_wgs_247_tpt_13_halfLds_dp_op_CI_CI_unitstride_sbrr_dirReg
	.p2align	8
	.type	fft_rtc_fwd_len39_factors_13_3_wgs_247_tpt_13_halfLds_dp_op_CI_CI_unitstride_sbrr_dirReg,@function
fft_rtc_fwd_len39_factors_13_3_wgs_247_tpt_13_halfLds_dp_op_CI_CI_unitstride_sbrr_dirReg: ; @fft_rtc_fwd_len39_factors_13_3_wgs_247_tpt_13_halfLds_dp_op_CI_CI_unitstride_sbrr_dirReg
; %bb.0:
	s_load_b128 s[8:11], s[0:1], 0x0
	v_mul_u32_u24_e32 v1, 0x13b2, v0
	s_clause 0x1
	s_load_b128 s[4:7], s[0:1], 0x58
	s_load_b128 s[12:15], s[0:1], 0x18
	v_mov_b32_e32 v54, 0
	v_lshrrev_b32_e32 v2, 16, v1
	v_mov_b32_e32 v1, 0
	s_delay_alu instid0(VALU_DEP_2) | instskip(NEXT) | instid1(VALU_DEP_2)
	v_mad_co_u64_u32 v[52:53], null, ttmp9, 19, v[2:3]
	v_mov_b32_e32 v53, v1
	v_mov_b32_e32 v55, 0
	s_delay_alu instid0(VALU_DEP_2) | instskip(SKIP_2) | instid1(VALU_DEP_3)
	v_dual_mov_b32 v59, v53 :: v_dual_mov_b32 v58, v52
	s_wait_kmcnt 0x0
	v_cmp_lt_u64_e64 s2, s[10:11], 2
	v_dual_mov_b32 v57, v55 :: v_dual_mov_b32 v56, v54
	s_delay_alu instid0(VALU_DEP_2)
	s_and_b32 vcc_lo, exec_lo, s2
	s_cbranch_vccnz .LBB0_8
; %bb.1:
	s_load_b64 s[2:3], s[0:1], 0x10
	v_dual_mov_b32 v54, 0 :: v_dual_mov_b32 v3, v52
	v_dual_mov_b32 v55, 0 :: v_dual_mov_b32 v4, v53
	s_add_nc_u64 s[16:17], s[14:15], 8
	s_add_nc_u64 s[18:19], s[12:13], 8
	s_mov_b64 s[20:21], 1
	s_delay_alu instid0(VALU_DEP_1)
	v_dual_mov_b32 v57, v55 :: v_dual_mov_b32 v56, v54
	s_wait_kmcnt 0x0
	s_add_nc_u64 s[22:23], s[2:3], 8
	s_mov_b32 s3, 0
.LBB0_2:                                ; =>This Inner Loop Header: Depth=1
	s_load_b64 s[24:25], s[22:23], 0x0
                                        ; implicit-def: $vgpr58_vgpr59
	s_mov_b32 s2, exec_lo
	s_wait_kmcnt 0x0
	v_or_b32_e32 v2, s25, v4
	s_delay_alu instid0(VALU_DEP_1)
	v_cmpx_ne_u64_e32 0, v[1:2]
	s_wait_alu 0xfffe
	s_xor_b32 s26, exec_lo, s2
	s_cbranch_execz .LBB0_4
; %bb.3:                                ;   in Loop: Header=BB0_2 Depth=1
	s_cvt_f32_u32 s2, s24
	s_cvt_f32_u32 s27, s25
	s_sub_nc_u64 s[30:31], 0, s[24:25]
	s_wait_alu 0xfffe
	s_delay_alu instid0(SALU_CYCLE_1) | instskip(SKIP_1) | instid1(SALU_CYCLE_2)
	s_fmamk_f32 s2, s27, 0x4f800000, s2
	s_wait_alu 0xfffe
	v_s_rcp_f32 s2, s2
	s_delay_alu instid0(TRANS32_DEP_1) | instskip(SKIP_1) | instid1(SALU_CYCLE_2)
	s_mul_f32 s2, s2, 0x5f7ffffc
	s_wait_alu 0xfffe
	s_mul_f32 s27, s2, 0x2f800000
	s_wait_alu 0xfffe
	s_delay_alu instid0(SALU_CYCLE_2) | instskip(SKIP_1) | instid1(SALU_CYCLE_2)
	s_trunc_f32 s27, s27
	s_wait_alu 0xfffe
	s_fmamk_f32 s2, s27, 0xcf800000, s2
	s_cvt_u32_f32 s29, s27
	s_wait_alu 0xfffe
	s_delay_alu instid0(SALU_CYCLE_1) | instskip(SKIP_1) | instid1(SALU_CYCLE_2)
	s_cvt_u32_f32 s28, s2
	s_wait_alu 0xfffe
	s_mul_u64 s[34:35], s[30:31], s[28:29]
	s_wait_alu 0xfffe
	s_mul_hi_u32 s37, s28, s35
	s_mul_i32 s36, s28, s35
	s_mul_hi_u32 s2, s28, s34
	s_mul_i32 s33, s29, s34
	s_wait_alu 0xfffe
	s_add_nc_u64 s[36:37], s[2:3], s[36:37]
	s_mul_hi_u32 s27, s29, s34
	s_mul_hi_u32 s38, s29, s35
	s_add_co_u32 s2, s36, s33
	s_wait_alu 0xfffe
	s_add_co_ci_u32 s2, s37, s27
	s_mul_i32 s34, s29, s35
	s_add_co_ci_u32 s35, s38, 0
	s_wait_alu 0xfffe
	s_add_nc_u64 s[34:35], s[2:3], s[34:35]
	s_wait_alu 0xfffe
	v_add_co_u32 v2, s2, s28, s34
	s_delay_alu instid0(VALU_DEP_1) | instskip(SKIP_1) | instid1(VALU_DEP_1)
	s_cmp_lg_u32 s2, 0
	s_add_co_ci_u32 s29, s29, s35
	v_readfirstlane_b32 s28, v2
	s_wait_alu 0xfffe
	s_delay_alu instid0(VALU_DEP_1)
	s_mul_u64 s[30:31], s[30:31], s[28:29]
	s_wait_alu 0xfffe
	s_mul_hi_u32 s35, s28, s31
	s_mul_i32 s34, s28, s31
	s_mul_hi_u32 s2, s28, s30
	s_mul_i32 s33, s29, s30
	s_wait_alu 0xfffe
	s_add_nc_u64 s[34:35], s[2:3], s[34:35]
	s_mul_hi_u32 s27, s29, s30
	s_mul_hi_u32 s28, s29, s31
	s_wait_alu 0xfffe
	s_add_co_u32 s2, s34, s33
	s_add_co_ci_u32 s2, s35, s27
	s_mul_i32 s30, s29, s31
	s_add_co_ci_u32 s31, s28, 0
	s_wait_alu 0xfffe
	s_add_nc_u64 s[30:31], s[2:3], s[30:31]
	s_wait_alu 0xfffe
	v_add_co_u32 v2, s2, v2, s30
	s_delay_alu instid0(VALU_DEP_1) | instskip(SKIP_1) | instid1(VALU_DEP_1)
	s_cmp_lg_u32 s2, 0
	s_add_co_ci_u32 s2, s29, s31
	v_mul_hi_u32 v11, v3, v2
	s_wait_alu 0xfffe
	v_mad_co_u64_u32 v[5:6], null, v3, s2, 0
	v_mad_co_u64_u32 v[7:8], null, v4, v2, 0
	;; [unrolled: 1-line block ×3, first 2 shown]
	s_delay_alu instid0(VALU_DEP_3) | instskip(SKIP_1) | instid1(VALU_DEP_4)
	v_add_co_u32 v2, vcc_lo, v11, v5
	s_wait_alu 0xfffd
	v_add_co_ci_u32_e32 v5, vcc_lo, 0, v6, vcc_lo
	s_delay_alu instid0(VALU_DEP_2) | instskip(SKIP_1) | instid1(VALU_DEP_2)
	v_add_co_u32 v2, vcc_lo, v2, v7
	s_wait_alu 0xfffd
	v_add_co_ci_u32_e32 v2, vcc_lo, v5, v8, vcc_lo
	s_wait_alu 0xfffd
	v_add_co_ci_u32_e32 v5, vcc_lo, 0, v10, vcc_lo
	s_delay_alu instid0(VALU_DEP_2) | instskip(SKIP_1) | instid1(VALU_DEP_2)
	v_add_co_u32 v2, vcc_lo, v2, v9
	s_wait_alu 0xfffd
	v_add_co_ci_u32_e32 v7, vcc_lo, 0, v5, vcc_lo
	s_delay_alu instid0(VALU_DEP_2) | instskip(SKIP_1) | instid1(VALU_DEP_3)
	v_mul_lo_u32 v8, s25, v2
	v_mad_co_u64_u32 v[5:6], null, s24, v2, 0
	v_mul_lo_u32 v9, s24, v7
	s_delay_alu instid0(VALU_DEP_2) | instskip(NEXT) | instid1(VALU_DEP_2)
	v_sub_co_u32 v5, vcc_lo, v3, v5
	v_add3_u32 v6, v6, v9, v8
	s_delay_alu instid0(VALU_DEP_1) | instskip(SKIP_1) | instid1(VALU_DEP_1)
	v_sub_nc_u32_e32 v8, v4, v6
	s_wait_alu 0xfffd
	v_subrev_co_ci_u32_e64 v8, s2, s25, v8, vcc_lo
	v_add_co_u32 v9, s2, v2, 2
	s_wait_alu 0xf1ff
	v_add_co_ci_u32_e64 v10, s2, 0, v7, s2
	v_sub_co_u32 v11, s2, v5, s24
	v_sub_co_ci_u32_e32 v6, vcc_lo, v4, v6, vcc_lo
	s_wait_alu 0xf1ff
	v_subrev_co_ci_u32_e64 v8, s2, 0, v8, s2
	s_delay_alu instid0(VALU_DEP_3) | instskip(NEXT) | instid1(VALU_DEP_3)
	v_cmp_le_u32_e32 vcc_lo, s24, v11
	v_cmp_eq_u32_e64 s2, s25, v6
	s_wait_alu 0xfffd
	v_cndmask_b32_e64 v11, 0, -1, vcc_lo
	v_cmp_le_u32_e32 vcc_lo, s25, v8
	s_wait_alu 0xfffd
	v_cndmask_b32_e64 v12, 0, -1, vcc_lo
	v_cmp_le_u32_e32 vcc_lo, s24, v5
	;; [unrolled: 3-line block ×3, first 2 shown]
	s_wait_alu 0xfffd
	v_cndmask_b32_e64 v13, 0, -1, vcc_lo
	v_cmp_eq_u32_e32 vcc_lo, s25, v8
	s_wait_alu 0xf1ff
	s_delay_alu instid0(VALU_DEP_2)
	v_cndmask_b32_e64 v5, v13, v5, s2
	s_wait_alu 0xfffd
	v_cndmask_b32_e32 v8, v12, v11, vcc_lo
	v_add_co_u32 v11, vcc_lo, v2, 1
	s_wait_alu 0xfffd
	v_add_co_ci_u32_e32 v12, vcc_lo, 0, v7, vcc_lo
	s_delay_alu instid0(VALU_DEP_3) | instskip(SKIP_1) | instid1(VALU_DEP_2)
	v_cmp_ne_u32_e32 vcc_lo, 0, v8
	s_wait_alu 0xfffd
	v_cndmask_b32_e32 v6, v12, v10, vcc_lo
	v_cndmask_b32_e32 v8, v11, v9, vcc_lo
	v_cmp_ne_u32_e32 vcc_lo, 0, v5
	s_wait_alu 0xfffd
	s_delay_alu instid0(VALU_DEP_2)
	v_dual_cndmask_b32 v59, v7, v6 :: v_dual_cndmask_b32 v58, v2, v8
.LBB0_4:                                ;   in Loop: Header=BB0_2 Depth=1
	s_wait_alu 0xfffe
	s_and_not1_saveexec_b32 s2, s26
	s_cbranch_execz .LBB0_6
; %bb.5:                                ;   in Loop: Header=BB0_2 Depth=1
	v_cvt_f32_u32_e32 v2, s24
	s_sub_co_i32 s26, 0, s24
	v_mov_b32_e32 v59, v1
	s_delay_alu instid0(VALU_DEP_2) | instskip(NEXT) | instid1(TRANS32_DEP_1)
	v_rcp_iflag_f32_e32 v2, v2
	v_mul_f32_e32 v2, 0x4f7ffffe, v2
	s_delay_alu instid0(VALU_DEP_1) | instskip(SKIP_1) | instid1(VALU_DEP_1)
	v_cvt_u32_f32_e32 v2, v2
	s_wait_alu 0xfffe
	v_mul_lo_u32 v5, s26, v2
	s_delay_alu instid0(VALU_DEP_1) | instskip(NEXT) | instid1(VALU_DEP_1)
	v_mul_hi_u32 v5, v2, v5
	v_add_nc_u32_e32 v2, v2, v5
	s_delay_alu instid0(VALU_DEP_1) | instskip(NEXT) | instid1(VALU_DEP_1)
	v_mul_hi_u32 v2, v3, v2
	v_mul_lo_u32 v5, v2, s24
	v_add_nc_u32_e32 v6, 1, v2
	s_delay_alu instid0(VALU_DEP_2) | instskip(NEXT) | instid1(VALU_DEP_1)
	v_sub_nc_u32_e32 v5, v3, v5
	v_subrev_nc_u32_e32 v7, s24, v5
	v_cmp_le_u32_e32 vcc_lo, s24, v5
	s_wait_alu 0xfffd
	s_delay_alu instid0(VALU_DEP_2) | instskip(NEXT) | instid1(VALU_DEP_1)
	v_dual_cndmask_b32 v5, v5, v7 :: v_dual_cndmask_b32 v2, v2, v6
	v_cmp_le_u32_e32 vcc_lo, s24, v5
	s_delay_alu instid0(VALU_DEP_2) | instskip(SKIP_1) | instid1(VALU_DEP_1)
	v_add_nc_u32_e32 v6, 1, v2
	s_wait_alu 0xfffd
	v_cndmask_b32_e32 v58, v2, v6, vcc_lo
.LBB0_6:                                ;   in Loop: Header=BB0_2 Depth=1
	s_wait_alu 0xfffe
	s_or_b32 exec_lo, exec_lo, s2
	v_mul_lo_u32 v2, v59, s24
	s_delay_alu instid0(VALU_DEP_2)
	v_mul_lo_u32 v7, v58, s25
	s_load_b64 s[26:27], s[18:19], 0x0
	v_mad_co_u64_u32 v[5:6], null, v58, s24, 0
	s_load_b64 s[24:25], s[16:17], 0x0
	s_add_nc_u64 s[20:21], s[20:21], 1
	s_add_nc_u64 s[16:17], s[16:17], 8
	s_wait_alu 0xfffe
	v_cmp_ge_u64_e64 s2, s[20:21], s[10:11]
	s_add_nc_u64 s[18:19], s[18:19], 8
	s_add_nc_u64 s[22:23], s[22:23], 8
	v_add3_u32 v2, v6, v7, v2
	v_sub_co_u32 v3, vcc_lo, v3, v5
	s_wait_alu 0xfffd
	s_delay_alu instid0(VALU_DEP_2) | instskip(SKIP_2) | instid1(VALU_DEP_1)
	v_sub_co_ci_u32_e32 v2, vcc_lo, v4, v2, vcc_lo
	s_and_b32 vcc_lo, exec_lo, s2
	s_wait_kmcnt 0x0
	v_mul_lo_u32 v4, s26, v2
	v_mul_lo_u32 v5, s27, v3
	v_mad_co_u64_u32 v[54:55], null, s26, v3, v[54:55]
	v_mul_lo_u32 v2, s24, v2
	v_mul_lo_u32 v6, s25, v3
	v_mad_co_u64_u32 v[56:57], null, s24, v3, v[56:57]
	s_delay_alu instid0(VALU_DEP_4) | instskip(NEXT) | instid1(VALU_DEP_2)
	v_add3_u32 v55, v5, v55, v4
	v_add3_u32 v57, v6, v57, v2
	s_wait_alu 0xfffe
	s_cbranch_vccnz .LBB0_8
; %bb.7:                                ;   in Loop: Header=BB0_2 Depth=1
	v_dual_mov_b32 v3, v58 :: v_dual_mov_b32 v4, v59
	s_branch .LBB0_2
.LBB0_8:
	s_load_b64 s[0:1], s[0:1], 0x28
	s_lshl_b64 s[10:11], s[10:11], 3
	v_mul_hi_u32 v1, 0x13b13b14, v0
	s_wait_alu 0xfffe
	s_add_nc_u64 s[2:3], s[14:15], s[10:11]
	v_mov_b32_e32 v61, 0
	s_load_b64 s[2:3], s[2:3], 0x0
                                        ; implicit-def: $vgpr2_vgpr3
                                        ; implicit-def: $vgpr6_vgpr7
                                        ; implicit-def: $vgpr10_vgpr11
                                        ; implicit-def: $vgpr22_vgpr23
                                        ; implicit-def: $vgpr34_vgpr35
                                        ; implicit-def: $vgpr18_vgpr19
                                        ; implicit-def: $vgpr14_vgpr15
                                        ; implicit-def: $vgpr26_vgpr27
                                        ; implicit-def: $vgpr38_vgpr39
                                        ; implicit-def: $vgpr42_vgpr43
                                        ; implicit-def: $vgpr46_vgpr47
                                        ; implicit-def: $vgpr50_vgpr51
                                        ; implicit-def: $vgpr30_vgpr31
	s_delay_alu instid0(VALU_DEP_2) | instskip(NEXT) | instid1(VALU_DEP_1)
	v_mul_u32_u24_e32 v1, 13, v1
	v_sub_nc_u32_e32 v60, v0, v1
	s_wait_kmcnt 0x0
	v_cmp_gt_u64_e32 vcc_lo, s[0:1], v[58:59]
	s_and_saveexec_b32 s1, vcc_lo
	s_cbranch_execz .LBB0_12
; %bb.9:
	s_mov_b32 s14, exec_lo
                                        ; implicit-def: $vgpr28_vgpr29
                                        ; implicit-def: $vgpr48_vgpr49
                                        ; implicit-def: $vgpr44_vgpr45
                                        ; implicit-def: $vgpr40_vgpr41
                                        ; implicit-def: $vgpr36_vgpr37
                                        ; implicit-def: $vgpr24_vgpr25
                                        ; implicit-def: $vgpr12_vgpr13
                                        ; implicit-def: $vgpr16_vgpr17
                                        ; implicit-def: $vgpr32_vgpr33
                                        ; implicit-def: $vgpr20_vgpr21
                                        ; implicit-def: $vgpr8_vgpr9
                                        ; implicit-def: $vgpr4_vgpr5
                                        ; implicit-def: $vgpr0_vgpr1
	v_cmpx_gt_u32_e32 3, v60
	s_cbranch_execz .LBB0_11
; %bb.10:
	s_add_nc_u64 s[10:11], s[12:13], s[10:11]
	v_mov_b32_e32 v61, 0
	s_load_b64 s[10:11], s[10:11], 0x0
	s_wait_kmcnt 0x0
	v_mul_lo_u32 v2, s11, v58
	v_mul_lo_u32 v3, s10, v59
	v_mad_co_u64_u32 v[0:1], null, s10, v58, 0
	s_delay_alu instid0(VALU_DEP_1) | instskip(SKIP_1) | instid1(VALU_DEP_2)
	v_add3_u32 v1, v1, v3, v2
	v_lshlrev_b64_e32 v[2:3], 4, v[54:55]
	v_lshlrev_b64_e32 v[0:1], 4, v[0:1]
	s_delay_alu instid0(VALU_DEP_1) | instskip(SKIP_1) | instid1(VALU_DEP_2)
	v_add_co_u32 v4, s0, s4, v0
	s_wait_alu 0xf1ff
	v_add_co_ci_u32_e64 v5, s0, s5, v1, s0
	v_lshlrev_b64_e32 v[0:1], 4, v[60:61]
	s_delay_alu instid0(VALU_DEP_3) | instskip(SKIP_1) | instid1(VALU_DEP_3)
	v_add_co_u32 v2, s0, v4, v2
	s_wait_alu 0xf1ff
	v_add_co_ci_u32_e64 v3, s0, v5, v3, s0
	s_delay_alu instid0(VALU_DEP_2) | instskip(SKIP_1) | instid1(VALU_DEP_2)
	v_add_co_u32 v0, s0, v2, v0
	s_wait_alu 0xf1ff
	v_add_co_ci_u32_e64 v1, s0, v3, v1, s0
	s_clause 0xc
	global_load_b128 v[28:31], v[0:1], off
	global_load_b128 v[48:51], v[0:1], off offset:48
	global_load_b128 v[44:47], v[0:1], off offset:96
	;; [unrolled: 1-line block ×12, first 2 shown]
.LBB0_11:
	s_or_b32 exec_lo, exec_lo, s14
	v_mov_b32_e32 v61, v60
.LBB0_12:
	s_wait_alu 0xfffe
	s_or_b32 exec_lo, exec_lo, s1
	v_mul_hi_u32 v53, 0xaf286bcb, v52
	v_cmp_gt_u32_e64 s0, 3, v60
	s_delay_alu instid0(VALU_DEP_2) | instskip(NEXT) | instid1(VALU_DEP_1)
	v_sub_nc_u32_e32 v54, v52, v53
	v_lshrrev_b32_e32 v54, 1, v54
	s_delay_alu instid0(VALU_DEP_1) | instskip(NEXT) | instid1(VALU_DEP_1)
	v_add_nc_u32_e32 v53, v54, v53
	v_lshrrev_b32_e32 v53, 4, v53
	s_delay_alu instid0(VALU_DEP_1) | instskip(NEXT) | instid1(VALU_DEP_1)
	v_mul_lo_u32 v53, v53, 19
	v_sub_nc_u32_e32 v52, v52, v53
	s_delay_alu instid0(VALU_DEP_1) | instskip(NEXT) | instid1(VALU_DEP_1)
	v_mul_u32_u24_e32 v52, 39, v52
	v_lshlrev_b32_e32 v62, 3, v52
	s_and_saveexec_b32 s1, s0
	s_cbranch_execz .LBB0_14
; %bb.13:
	s_wait_loadcnt 0xb
	v_add_f64_e32 v[52:53], v[48:49], v[28:29]
	s_wait_loadcnt 0x0
	v_add_f64_e64 v[65:66], v[50:51], -v[2:3]
	v_add_f64_e64 v[54:55], v[42:43], -v[10:11]
	;; [unrolled: 1-line block ×6, first 2 shown]
	s_mov_b32 s24, 0x2ef20147
	s_mov_b32 s20, 0x24c2f84
	;; [unrolled: 1-line block ×8, first 2 shown]
	v_add_f64_e32 v[73:74], v[0:1], v[48:49]
	s_mov_b32 s29, 0x3fefc445
	s_mov_b32 s23, 0x3fea55e2
	;; [unrolled: 1-line block ×7, first 2 shown]
	s_wait_alu 0xfffe
	s_mov_b32 s34, s28
	s_mov_b32 s16, 0xd0032e0c
	;; [unrolled: 1-line block ×8, first 2 shown]
	v_add_f64_e32 v[95:96], v[4:5], v[44:45]
	s_mov_b32 s12, 0x1ea71119
	s_mov_b32 s11, 0x3fbedb7d
	;; [unrolled: 1-line block ×6, first 2 shown]
	v_add_f64_e32 v[52:53], v[44:45], v[52:53]
	v_mul_f64_e32 v[79:80], s[26:27], v[65:66]
	v_mul_f64_e32 v[83:84], s[20:21], v[65:66]
	;; [unrolled: 1-line block ×8, first 2 shown]
	s_wait_alu 0xfffe
	v_mul_f64_e32 v[91:92], s[34:35], v[65:66]
	s_mov_b32 s5, 0xbfddbe06
	v_mul_f64_e32 v[93:94], s[30:31], v[65:66]
	s_wait_alu 0xfffe
	v_mul_f64_e32 v[65:66], s[4:5], v[65:66]
	s_mov_b32 s4, 0xb2365da1
	s_mov_b32 s5, 0xbfd6b1d8
	v_mul_f64_e32 v[97:98], s[28:29], v[63:64]
	v_mul_f64_e32 v[99:100], s[36:37], v[63:64]
	;; [unrolled: 1-line block ×5, first 2 shown]
	s_mov_b32 s38, s24
	v_mul_f64_e32 v[117:118], s[20:21], v[54:55]
	v_mul_f64_e32 v[119:120], s[30:31], v[54:55]
	;; [unrolled: 1-line block ×5, first 2 shown]
	s_mov_b32 s39, 0x3fcea1e5
	s_mov_b32 s38, s26
	v_mul_f64_e32 v[139:140], s[34:35], v[69:70]
	s_wait_alu 0xfffe
	v_mul_f64_e32 v[137:138], s[38:39], v[69:70]
	v_mul_f64_e32 v[141:142], s[36:37], v[69:70]
	v_add_f64_e32 v[52:53], v[40:41], v[52:53]
	v_fma_f64 v[105:106], v[73:74], s[14:15], v[79:80]
	v_fma_f64 v[79:80], v[73:74], s[14:15], -v[79:80]
	v_fma_f64 v[107:108], v[73:74], s[16:17], v[83:84]
	v_fma_f64 v[83:84], v[73:74], s[16:17], -v[83:84]
	v_fma_f64 v[109:110], v[73:74], s[4:5], v[87:88]
	v_fma_f64 v[87:88], v[73:74], s[4:5], -v[87:88]
	v_fma_f64 v[125:126], v[95:96], s[18:19], v[77:78]
	v_fma_f64 v[77:78], v[95:96], s[18:19], -v[77:78]
	v_fma_f64 v[111:112], v[73:74], s[10:11], v[91:92]
	v_fma_f64 v[91:92], v[73:74], s[10:11], -v[91:92]
	v_fma_f64 v[113:114], v[73:74], s[12:13], v[93:94]
	v_fma_f64 v[93:94], v[73:74], s[12:13], -v[93:94]
	v_fma_f64 v[115:116], v[73:74], s[18:19], -v[65:66]
	v_fma_f64 v[65:66], v[73:74], s[18:19], v[65:66]
	v_add_f64_e32 v[73:74], v[8:9], v[40:41]
	v_fma_f64 v[127:128], v[95:96], s[10:11], v[97:98]
	v_fma_f64 v[97:98], v[95:96], s[10:11], -v[97:98]
	v_fma_f64 v[129:130], v[95:96], s[16:17], v[99:100]
	v_fma_f64 v[99:100], v[95:96], s[16:17], -v[99:100]
	;; [unrolled: 2-line block ×5, first 2 shown]
	v_add_f64_e32 v[52:53], v[36:37], v[52:53]
	v_add_f64_e32 v[95:96], v[28:29], v[105:106]
	v_add_f64_e32 v[79:80], v[28:29], v[79:80]
	v_add_f64_e32 v[105:106], v[28:29], v[107:108]
	v_add_f64_e32 v[83:84], v[28:29], v[83:84]
	v_add_f64_e32 v[107:108], v[28:29], v[109:110]
	v_add_f64_e32 v[87:88], v[28:29], v[87:88]
	v_add_f64_e32 v[109:110], v[28:29], v[111:112]
	v_add_f64_e32 v[91:92], v[28:29], v[91:92]
	v_add_f64_e32 v[111:112], v[28:29], v[113:114]
	v_add_f64_e32 v[93:94], v[28:29], v[93:94]
	v_add_f64_e32 v[113:114], v[28:29], v[115:116]
	v_add_f64_e32 v[28:29], v[28:29], v[65:66]
	v_add_f64_e32 v[65:66], v[20:21], v[36:37]
	v_mul_f64_e32 v[115:116], s[22:23], v[69:70]
	v_mul_f64_e32 v[69:70], s[24:25], v[69:70]
	v_fma_f64 v[143:144], v[73:74], s[16:17], v[117:118]
	v_fma_f64 v[117:118], v[73:74], s[16:17], -v[117:118]
	v_fma_f64 v[145:146], v[73:74], s[12:13], v[119:120]
	v_fma_f64 v[119:120], v[73:74], s[12:13], -v[119:120]
	;; [unrolled: 2-line block ×6, first 2 shown]
	v_add_f64_e32 v[52:53], v[24:25], v[52:53]
	v_add_f64_e32 v[73:74], v[125:126], v[95:96]
	;; [unrolled: 1-line block ×7, first 2 shown]
	v_mul_f64_e32 v[105:106], s[38:39], v[67:68]
	v_mul_f64_e32 v[107:108], s[30:31], v[67:68]
	v_add_f64_e32 v[97:98], v[131:132], v[109:110]
	v_add_f64_e32 v[91:92], v[101:102], v[91:92]
	;; [unrolled: 1-line block ×7, first 2 shown]
	v_mul_f64_e32 v[103:104], s[24:25], v[67:68]
	v_fma_f64 v[111:112], v[65:66], s[12:13], v[115:116]
	v_fma_f64 v[113:114], v[65:66], s[12:13], -v[115:116]
	v_fma_f64 v[115:116], v[65:66], s[14:15], v[137:138]
	v_fma_f64 v[125:126], v[65:66], s[14:15], -v[137:138]
	;; [unrolled: 2-line block ×6, first 2 shown]
	v_mul_f64_e32 v[109:110], s[28:29], v[67:68]
	v_mul_f64_e32 v[67:68], s[20:21], v[67:68]
	v_add_f64_e32 v[52:53], v[12:13], v[52:53]
	v_add_f64_e32 v[69:70], v[143:144], v[73:74]
	;; [unrolled: 1-line block ×7, first 2 shown]
	v_mul_f64_e32 v[117:118], s[22:23], v[71:72]
	v_mul_f64_e32 v[119:120], s[20:21], v[71:72]
	v_add_f64_e32 v[87:88], v[149:150], v[97:98]
	v_add_f64_e32 v[91:92], v[121:122], v[91:92]
	v_add_f64_e32 v[95:96], v[151:152], v[99:100]
	v_add_f64_e32 v[93:94], v[123:124], v[93:94]
	v_add_f64_e32 v[54:55], v[54:55], v[63:64]
	v_add_f64_e32 v[28:29], v[153:154], v[28:29]
	v_add_f64_e32 v[63:64], v[16:17], v[12:13]
	v_mul_f64_e32 v[97:98], s[28:29], v[71:72]
	v_mul_f64_e32 v[99:100], s[24:25], v[71:72]
	;; [unrolled: 1-line block ×3, first 2 shown]
	v_fma_f64 v[121:122], v[101:102], s[4:5], v[103:104]
	v_fma_f64 v[103:104], v[101:102], s[4:5], -v[103:104]
	v_fma_f64 v[123:124], v[101:102], s[18:19], v[81:82]
	v_fma_f64 v[81:82], v[101:102], s[18:19], -v[81:82]
	;; [unrolled: 2-line block ×6, first 2 shown]
	v_add_f64_e32 v[52:53], v[16:17], v[52:53]
	v_add_f64_e32 v[69:70], v[111:112], v[69:70]
	;; [unrolled: 1-line block ×13, first 2 shown]
	v_fma_f64 v[101:102], v[63:64], s[12:13], v[117:118]
	v_fma_f64 v[65:66], v[63:64], s[10:11], v[97:98]
	v_fma_f64 v[95:96], v[63:64], s[10:11], -v[97:98]
	v_fma_f64 v[97:98], v[63:64], s[4:5], v[99:100]
	v_fma_f64 v[99:100], v[63:64], s[4:5], -v[99:100]
	v_fma_f64 v[111:112], v[63:64], s[12:13], -v[117:118]
	v_fma_f64 v[113:114], v[63:64], s[16:17], v[119:120]
	v_fma_f64 v[115:116], v[63:64], s[16:17], -v[119:120]
	v_fma_f64 v[117:118], v[63:64], s[18:19], v[89:90]
	v_fma_f64 v[89:90], v[63:64], s[18:19], -v[89:90]
	v_fma_f64 v[119:120], v[63:64], s[14:15], v[71:72]
	v_fma_f64 v[63:64], v[63:64], s[14:15], -v[71:72]
	v_add_f64_e32 v[52:53], v[32:33], v[52:53]
	v_add_f64_e32 v[69:70], v[121:122], v[69:70]
	;; [unrolled: 1-line block ×26, first 2 shown]
	v_mul_u32_u24_e32 v63, 0x68, v60
	s_delay_alu instid0(VALU_DEP_1) | instskip(SKIP_1) | instid1(VALU_DEP_1)
	v_add3_u32 v63, 0, v63, v62
	v_add_f64_e32 v[52:53], v[8:9], v[52:53]
	v_add_f64_e32 v[52:53], v[4:5], v[52:53]
	s_delay_alu instid0(VALU_DEP_1)
	v_add_f64_e32 v[52:53], v[0:1], v[52:53]
	ds_store_2addr_b64 v63, v[75:76], v[71:72] offset0:4 offset1:5
	ds_store_2addr_b64 v63, v[67:68], v[65:66] offset0:6 offset1:7
	;; [unrolled: 1-line block ×5, first 2 shown]
	ds_store_2addr_b64 v63, v[52:53], v[54:55] offset1:1
	ds_store_b64 v63, v[28:29] offset:96
.LBB0_14:
	s_wait_alu 0xfffe
	s_or_b32 exec_lo, exec_lo, s1
	s_wait_loadcnt 0xc
	v_lshlrev_b32_e32 v28, 3, v60
	global_wb scope:SCOPE_SE
	s_wait_loadcnt_dscnt 0x0
	s_barrier_signal -1
	s_barrier_wait -1
	global_inv scope:SCOPE_SE
	v_add_nc_u32_e32 v65, 0, v28
	v_add3_u32 v63, 0, v62, v28
	s_delay_alu instid0(VALU_DEP_2)
	v_add_nc_u32_e32 v64, v65, v62
	ds_load_b64 v[28:29], v63
	ds_load_2addr_b64 v[52:55], v64 offset0:13 offset1:26
	global_wb scope:SCOPE_SE
	s_wait_dscnt 0x0
	s_barrier_signal -1
	s_barrier_wait -1
	global_inv scope:SCOPE_SE
	s_and_saveexec_b32 s33, s0
	s_cbranch_execz .LBB0_16
; %bb.15:
	v_add_f64_e32 v[66:67], v[50:51], v[30:31]
	v_add_f64_e64 v[0:1], v[48:49], -v[0:1]
	s_mov_b32 s28, 0x42a4c3d2
	s_mov_b32 s14, 0x2ef20147
	;; [unrolled: 1-line block ×10, first 2 shown]
	v_add_f64_e64 v[4:5], v[44:45], -v[4:5]
	v_add_f64_e32 v[44:45], v[2:3], v[50:51]
	s_mov_b32 s30, 0x66966769
	s_mov_b32 s31, 0xbfefc445
	;; [unrolled: 1-line block ×12, first 2 shown]
	s_wait_alu 0xfffe
	s_mov_b32 s34, s20
	s_mov_b32 s26, s30
	;; [unrolled: 1-line block ×5, first 2 shown]
	v_add_f64_e64 v[8:9], v[40:41], -v[8:9]
	v_add_f64_e32 v[40:41], v[6:7], v[46:47]
	s_mov_b32 s5, 0x3fbedb7d
	s_mov_b32 s37, 0x3fedeba7
	;; [unrolled: 1-line block ×3, first 2 shown]
	v_add_f64_e64 v[20:21], v[36:37], -v[20:21]
	s_mov_b32 s39, 0x3fcea1e5
	v_add_f64_e32 v[66:67], v[46:47], v[66:67]
	v_mul_f64_e32 v[50:51], s[12:13], v[0:1]
	v_mul_f64_e32 v[68:69], s[14:15], v[0:1]
	;; [unrolled: 1-line block ×4, first 2 shown]
	s_mov_b32 s13, 0x3fddbe06
	s_mov_b32 s38, s24
	v_add_f64_e64 v[24:25], v[24:25], -v[32:33]
	v_add_f64_e64 v[12:13], v[12:13], -v[16:17]
	v_mul_f64_e32 v[46:47], s[28:29], v[4:5]
	v_mul_f64_e32 v[74:75], s[14:15], v[4:5]
	;; [unrolled: 1-line block ×3, first 2 shown]
	s_wait_alu 0xfffe
	v_mul_f64_e32 v[78:79], s[34:35], v[4:5]
	v_mul_f64_e32 v[80:81], s[26:27], v[4:5]
	;; [unrolled: 1-line block ×7, first 2 shown]
	s_mov_b32 s37, 0x3fea55e2
	s_mov_b32 s36, s28
	v_mul_f64_e32 v[32:33], s[14:15], v[20:21]
	v_add_f64_e32 v[66:67], v[42:43], v[66:67]
	v_fma_f64 v[82:83], v[44:45], s[0:1], v[50:51]
	v_fma_f64 v[86:87], v[44:45], s[16:17], v[68:69]
	v_fma_f64 v[68:69], v[44:45], s[16:17], -v[68:69]
	v_fma_f64 v[88:89], v[44:45], s[18:19], v[70:71]
	v_fma_f64 v[90:91], v[44:45], s[22:23], v[72:73]
	v_fma_f64 v[72:73], v[44:45], s[22:23], -v[72:73]
	v_fma_f64 v[70:71], v[44:45], s[18:19], -v[70:71]
	v_add_f64_e32 v[42:43], v[10:11], v[42:43]
	v_mul_f64_e32 v[112:113], s[38:39], v[20:21]
	s_wait_alu 0xfffe
	v_mul_f64_e32 v[114:115], s[36:37], v[20:21]
	v_mul_f64_e32 v[16:17], s[20:21], v[24:25]
	v_fma_f64 v[100:101], v[40:41], s[10:11], v[46:47]
	v_fma_f64 v[46:47], v[40:41], s[10:11], -v[46:47]
	v_fma_f64 v[102:103], v[40:41], s[16:17], v[74:75]
	v_fma_f64 v[74:75], v[40:41], s[16:17], -v[74:75]
	;; [unrolled: 2-line block ×6, first 2 shown]
	v_add_f64_e32 v[48:49], v[38:39], v[66:67]
	v_mul_f64_e32 v[66:67], s[28:29], v[0:1]
	v_mul_f64_e32 v[0:1], s[30:31], v[0:1]
	v_add_f64_e32 v[40:41], v[30:31], v[82:83]
	v_add_f64_e32 v[68:69], v[30:31], v[68:69]
	;; [unrolled: 1-line block ×5, first 2 shown]
	v_fma_f64 v[116:117], v[42:43], s[4:5], v[36:37]
	v_fma_f64 v[36:37], v[42:43], s[4:5], -v[36:37]
	v_fma_f64 v[120:121], v[42:43], s[16:17], v[94:95]
	v_fma_f64 v[94:95], v[42:43], s[16:17], -v[94:95]
	;; [unrolled: 2-line block ×4, first 2 shown]
	v_add_f64_e32 v[48:49], v[26:27], v[48:49]
	v_fma_f64 v[84:85], v[44:45], s[10:11], v[66:67]
	v_fma_f64 v[66:67], v[44:45], s[10:11], -v[66:67]
	v_fma_f64 v[92:93], v[44:45], s[4:5], -v[0:1]
	v_fma_f64 v[0:1], v[44:45], s[4:5], v[0:1]
	v_fma_f64 v[44:45], v[44:45], s[0:1], -v[50:51]
	v_mul_f64_e32 v[50:51], s[24:25], v[8:9]
	v_mul_f64_e32 v[8:9], s[12:13], v[8:9]
	v_add_f64_e32 v[40:41], v[100:101], v[40:41]
	v_add_f64_e32 v[68:69], v[78:79], v[68:69]
	;; [unrolled: 1-line block ×5, first 2 shown]
	v_mul_f64_e32 v[80:81], s[14:15], v[24:25]
	v_fma_f64 v[100:101], v[38:39], s[22:23], -v[112:113]
	v_add_f64_e32 v[48:49], v[14:15], v[48:49]
	v_add_f64_e32 v[82:83], v[30:31], v[84:85]
	;; [unrolled: 1-line block ×9, first 2 shown]
	v_mul_f64_e32 v[44:45], s[34:35], v[20:21]
	v_mul_f64_e32 v[92:93], s[30:31], v[20:21]
	;; [unrolled: 1-line block ×3, first 2 shown]
	v_fma_f64 v[118:119], v[42:43], s[22:23], v[50:51]
	v_fma_f64 v[50:51], v[42:43], s[22:23], -v[50:51]
	v_fma_f64 v[126:127], v[42:43], s[0:1], v[8:9]
	v_fma_f64 v[8:9], v[42:43], s[0:1], -v[8:9]
	v_add_f64_e32 v[4:5], v[98:99], v[4:5]
	v_add_f64_e32 v[70:71], v[96:97], v[70:71]
	;; [unrolled: 1-line block ×12, first 2 shown]
	v_mul_f64_e32 v[46:47], s[28:29], v[24:25]
	v_mul_f64_e32 v[76:77], s[38:39], v[24:25]
	v_fma_f64 v[84:85], v[38:39], s[16:17], v[32:33]
	v_fma_f64 v[32:33], v[38:39], s[16:17], -v[32:33]
	v_fma_f64 v[86:87], v[38:39], s[18:19], v[44:45]
	v_fma_f64 v[44:45], v[38:39], s[18:19], -v[44:45]
	v_fma_f64 v[88:89], v[38:39], s[4:5], v[92:93]
	v_fma_f64 v[90:91], v[38:39], s[4:5], -v[92:93]
	v_fma_f64 v[92:93], v[38:39], s[22:23], v[112:113]
	v_fma_f64 v[102:103], v[38:39], s[10:11], v[114:115]
	v_fma_f64 v[104:105], v[38:39], s[10:11], -v[114:115]
	v_fma_f64 v[106:107], v[38:39], s[0:1], v[20:21]
	v_fma_f64 v[20:21], v[38:39], s[0:1], -v[20:21]
	v_add_f64_e32 v[38:39], v[116:117], v[40:41]
	v_add_f64_e32 v[8:9], v[8:9], v[68:69]
	v_mul_f64_e32 v[18:19], s[24:25], v[12:13]
	v_fma_f64 v[108:109], v[26:27], s[16:17], v[80:81]
	v_fma_f64 v[80:81], v[26:27], s[16:17], -v[80:81]
	v_add_f64_e32 v[48:49], v[34:35], v[48:49]
	v_mul_f64_e32 v[34:35], s[26:27], v[24:25]
	v_mul_f64_e32 v[24:25], s[12:13], v[24:25]
	v_add_f64_e32 v[40:41], v[118:119], v[42:43]
	v_add_f64_e32 v[42:43], v[50:51], v[66:67]
	;; [unrolled: 1-line block ×8, first 2 shown]
	v_mul_f64_e32 v[36:37], s[20:21], v[12:13]
	v_mul_f64_e32 v[74:75], s[14:15], v[12:13]
	;; [unrolled: 1-line block ×3, first 2 shown]
	v_fma_f64 v[82:83], v[26:27], s[18:19], v[16:17]
	v_fma_f64 v[16:17], v[26:27], s[18:19], -v[16:17]
	v_fma_f64 v[96:97], v[26:27], s[10:11], v[46:47]
	v_fma_f64 v[46:47], v[26:27], s[10:11], -v[46:47]
	;; [unrolled: 2-line block ×3, first 2 shown]
	v_add_f64_e32 v[4:5], v[104:105], v[4:5]
	v_add_f64_e32 v[8:9], v[90:91], v[8:9]
	;; [unrolled: 1-line block ×3, first 2 shown]
	v_mul_f64_e32 v[48:49], s[36:37], v[12:13]
	v_mul_f64_e32 v[12:13], s[12:13], v[12:13]
	v_fma_f64 v[94:95], v[26:27], s[4:5], v[34:35]
	v_fma_f64 v[34:35], v[26:27], s[4:5], -v[34:35]
	v_fma_f64 v[110:111], v[26:27], s[0:1], v[24:25]
	v_fma_f64 v[24:25], v[26:27], s[0:1], -v[24:25]
	v_add_f64_e32 v[26:27], v[84:85], v[38:39]
	v_add_f64_e32 v[38:39], v[86:87], v[40:41]
	;; [unrolled: 1-line block ×9, first 2 shown]
	v_fma_f64 v[70:71], v[14:15], s[16:17], v[74:75]
	v_fma_f64 v[72:73], v[14:15], s[16:17], -v[74:75]
	v_fma_f64 v[74:75], v[14:15], s[4:5], v[78:79]
	v_fma_f64 v[78:79], v[14:15], s[4:5], -v[78:79]
	v_add_f64_e32 v[4:5], v[80:81], v[4:5]
	v_add_f64_e32 v[8:9], v[76:77], v[8:9]
	;; [unrolled: 1-line block ×4, first 2 shown]
	v_fma_f64 v[30:31], v[14:15], s[22:23], v[18:19]
	v_fma_f64 v[18:19], v[14:15], s[22:23], -v[18:19]
	v_fma_f64 v[32:33], v[14:15], s[18:19], v[36:37]
	v_fma_f64 v[36:37], v[14:15], s[18:19], -v[36:37]
	;; [unrolled: 2-line block ×4, first 2 shown]
	v_add_f64_e32 v[14:15], v[82:83], v[26:27]
	v_add_f64_e32 v[26:27], v[94:95], v[38:39]
	;; [unrolled: 1-line block ×24, first 2 shown]
	v_mul_u32_u24_e32 v10, 0x60, v60
	s_delay_alu instid0(VALU_DEP_1)
	v_add3_u32 v10, v65, v10, v62
	ds_store_2addr_b64 v10, v[22:23], v[26:27] offset0:4 offset1:5
	ds_store_2addr_b64 v10, v[30:31], v[4:5] offset0:6 offset1:7
	;; [unrolled: 1-line block ×4, first 2 shown]
	ds_store_2addr_b64 v10, v[2:3], v[14:15] offset1:1
	ds_store_2addr_b64 v10, v[16:17], v[0:1] offset0:2 offset1:3
	ds_store_b64 v10, v[6:7] offset:96
.LBB0_16:
	s_or_b32 exec_lo, exec_lo, s33
	global_wb scope:SCOPE_SE
	s_wait_dscnt 0x0
	s_barrier_signal -1
	s_barrier_wait -1
	global_inv scope:SCOPE_SE
	s_and_saveexec_b32 s0, vcc_lo
	s_cbranch_execz .LBB0_18
; %bb.17:
	v_dual_mov_b32 v12, 0 :: v_dual_lshlrev_b32 v11, 1, v60
	s_mov_b32 s0, 0xe8584caa
	s_mov_b32 s1, 0x3febb67a
	;; [unrolled: 1-line block ×3, first 2 shown]
	s_wait_alu 0xfffe
	s_mov_b32 s4, s0
	v_lshlrev_b64_e32 v[0:1], 4, v[11:12]
	v_mul_lo_u32 v21, s3, v58
	v_mul_lo_u32 v22, s2, v59
	v_mov_b32_e32 v62, v12
	s_delay_alu instid0(VALU_DEP_4)
	v_add_co_u32 v4, vcc_lo, s8, v0
	s_wait_alu 0xfffd
	v_add_co_ci_u32_e32 v5, vcc_lo, s9, v1, vcc_lo
	s_clause 0x1
	global_load_b128 v[0:3], v[4:5], off
	global_load_b128 v[4:7], v[4:5], off offset:16
	ds_load_2addr_b64 v[8:11], v64 offset0:13 offset1:26
	s_wait_loadcnt 0x1
	v_mul_f64_e32 v[13:14], v[52:53], v[2:3]
	s_wait_loadcnt 0x0
	v_mul_f64_e32 v[15:16], v[54:55], v[6:7]
	s_wait_dscnt 0x0
	v_mul_f64_e32 v[2:3], v[8:9], v[2:3]
	v_mul_f64_e32 v[6:7], v[10:11], v[6:7]
	s_delay_alu instid0(VALU_DEP_4) | instskip(NEXT) | instid1(VALU_DEP_4)
	v_fma_f64 v[8:9], v[0:1], v[8:9], v[13:14]
	v_fma_f64 v[10:11], v[4:5], v[10:11], v[15:16]
	s_delay_alu instid0(VALU_DEP_4) | instskip(NEXT) | instid1(VALU_DEP_4)
	v_fma_f64 v[0:1], v[52:53], v[0:1], -v[2:3]
	v_fma_f64 v[4:5], v[54:55], v[4:5], -v[6:7]
	ds_load_b64 v[13:14], v63
	s_wait_dscnt 0x0
	v_add_f64_e32 v[17:18], v[8:9], v[13:14]
	v_add_f64_e32 v[2:3], v[8:9], v[10:11]
	v_add_f64_e64 v[8:9], v[8:9], -v[10:11]
	v_add_f64_e32 v[6:7], v[0:1], v[4:5]
	v_add_f64_e64 v[15:16], v[0:1], -v[4:5]
	v_add_f64_e32 v[0:1], v[28:29], v[0:1]
	v_fma_f64 v[13:14], v[2:3], -0.5, v[13:14]
	v_add_f64_e32 v[2:3], v[17:18], v[10:11]
	v_fma_f64 v[19:20], v[6:7], -0.5, v[28:29]
	s_delay_alu instid0(VALU_DEP_4) | instskip(SKIP_1) | instid1(VALU_DEP_4)
	v_add_f64_e32 v[0:1], v[0:1], v[4:5]
	s_wait_alu 0xfffe
	v_fma_f64 v[10:11], v[15:16], s[4:5], v[13:14]
	v_fma_f64 v[6:7], v[15:16], s[0:1], v[13:14]
	s_delay_alu instid0(VALU_DEP_4) | instskip(SKIP_3) | instid1(VALU_DEP_2)
	v_fma_f64 v[4:5], v[8:9], s[4:5], v[19:20]
	v_fma_f64 v[8:9], v[8:9], s[0:1], v[19:20]
	v_mad_co_u64_u32 v[13:14], null, s2, v58, 0
	v_lshlrev_b64_e32 v[15:16], 4, v[56:57]
	v_add3_u32 v14, v14, v22, v21
	s_delay_alu instid0(VALU_DEP_1) | instskip(NEXT) | instid1(VALU_DEP_1)
	v_lshlrev_b64_e32 v[13:14], 4, v[13:14]
	v_add_co_u32 v17, vcc_lo, s6, v13
	s_wait_alu 0xfffd
	s_delay_alu instid0(VALU_DEP_2) | instskip(SKIP_1) | instid1(VALU_DEP_3)
	v_add_co_ci_u32_e32 v14, vcc_lo, s7, v14, vcc_lo
	v_lshlrev_b64_e32 v[12:13], 4, v[61:62]
	v_add_co_u32 v15, vcc_lo, v17, v15
	s_wait_alu 0xfffd
	s_delay_alu instid0(VALU_DEP_3) | instskip(NEXT) | instid1(VALU_DEP_2)
	v_add_co_ci_u32_e32 v14, vcc_lo, v14, v16, vcc_lo
	v_add_co_u32 v12, vcc_lo, v15, v12
	s_wait_alu 0xfffd
	s_delay_alu instid0(VALU_DEP_2)
	v_add_co_ci_u32_e32 v13, vcc_lo, v14, v13, vcc_lo
	s_clause 0x2
	global_store_b128 v[12:13], v[0:3], off
	global_store_b128 v[12:13], v[8:11], off offset:208
	global_store_b128 v[12:13], v[4:7], off offset:416
.LBB0_18:
	s_nop 0
	s_sendmsg sendmsg(MSG_DEALLOC_VGPRS)
	s_endpgm
	.section	.rodata,"a",@progbits
	.p2align	6, 0x0
	.amdhsa_kernel fft_rtc_fwd_len39_factors_13_3_wgs_247_tpt_13_halfLds_dp_op_CI_CI_unitstride_sbrr_dirReg
		.amdhsa_group_segment_fixed_size 0
		.amdhsa_private_segment_fixed_size 0
		.amdhsa_kernarg_size 104
		.amdhsa_user_sgpr_count 2
		.amdhsa_user_sgpr_dispatch_ptr 0
		.amdhsa_user_sgpr_queue_ptr 0
		.amdhsa_user_sgpr_kernarg_segment_ptr 1
		.amdhsa_user_sgpr_dispatch_id 0
		.amdhsa_user_sgpr_private_segment_size 0
		.amdhsa_wavefront_size32 1
		.amdhsa_uses_dynamic_stack 0
		.amdhsa_enable_private_segment 0
		.amdhsa_system_sgpr_workgroup_id_x 1
		.amdhsa_system_sgpr_workgroup_id_y 0
		.amdhsa_system_sgpr_workgroup_id_z 0
		.amdhsa_system_sgpr_workgroup_info 0
		.amdhsa_system_vgpr_workitem_id 0
		.amdhsa_next_free_vgpr 155
		.amdhsa_next_free_sgpr 40
		.amdhsa_reserve_vcc 1
		.amdhsa_float_round_mode_32 0
		.amdhsa_float_round_mode_16_64 0
		.amdhsa_float_denorm_mode_32 3
		.amdhsa_float_denorm_mode_16_64 3
		.amdhsa_fp16_overflow 0
		.amdhsa_workgroup_processor_mode 1
		.amdhsa_memory_ordered 1
		.amdhsa_forward_progress 0
		.amdhsa_round_robin_scheduling 0
		.amdhsa_exception_fp_ieee_invalid_op 0
		.amdhsa_exception_fp_denorm_src 0
		.amdhsa_exception_fp_ieee_div_zero 0
		.amdhsa_exception_fp_ieee_overflow 0
		.amdhsa_exception_fp_ieee_underflow 0
		.amdhsa_exception_fp_ieee_inexact 0
		.amdhsa_exception_int_div_zero 0
	.end_amdhsa_kernel
	.text
.Lfunc_end0:
	.size	fft_rtc_fwd_len39_factors_13_3_wgs_247_tpt_13_halfLds_dp_op_CI_CI_unitstride_sbrr_dirReg, .Lfunc_end0-fft_rtc_fwd_len39_factors_13_3_wgs_247_tpt_13_halfLds_dp_op_CI_CI_unitstride_sbrr_dirReg
                                        ; -- End function
	.section	.AMDGPU.csdata,"",@progbits
; Kernel info:
; codeLenInByte = 5320
; NumSgprs: 42
; NumVgprs: 155
; ScratchSize: 0
; MemoryBound: 1
; FloatMode: 240
; IeeeMode: 1
; LDSByteSize: 0 bytes/workgroup (compile time only)
; SGPRBlocks: 5
; VGPRBlocks: 19
; NumSGPRsForWavesPerEU: 42
; NumVGPRsForWavesPerEU: 155
; Occupancy: 9
; WaveLimiterHint : 1
; COMPUTE_PGM_RSRC2:SCRATCH_EN: 0
; COMPUTE_PGM_RSRC2:USER_SGPR: 2
; COMPUTE_PGM_RSRC2:TRAP_HANDLER: 0
; COMPUTE_PGM_RSRC2:TGID_X_EN: 1
; COMPUTE_PGM_RSRC2:TGID_Y_EN: 0
; COMPUTE_PGM_RSRC2:TGID_Z_EN: 0
; COMPUTE_PGM_RSRC2:TIDIG_COMP_CNT: 0
	.text
	.p2alignl 7, 3214868480
	.fill 96, 4, 3214868480
	.type	__hip_cuid_5b5ac5c54765f3fa,@object ; @__hip_cuid_5b5ac5c54765f3fa
	.section	.bss,"aw",@nobits
	.globl	__hip_cuid_5b5ac5c54765f3fa
__hip_cuid_5b5ac5c54765f3fa:
	.byte	0                               ; 0x0
	.size	__hip_cuid_5b5ac5c54765f3fa, 1

	.ident	"AMD clang version 19.0.0git (https://github.com/RadeonOpenCompute/llvm-project roc-6.4.0 25133 c7fe45cf4b819c5991fe208aaa96edf142730f1d)"
	.section	".note.GNU-stack","",@progbits
	.addrsig
	.addrsig_sym __hip_cuid_5b5ac5c54765f3fa
	.amdgpu_metadata
---
amdhsa.kernels:
  - .args:
      - .actual_access:  read_only
        .address_space:  global
        .offset:         0
        .size:           8
        .value_kind:     global_buffer
      - .offset:         8
        .size:           8
        .value_kind:     by_value
      - .actual_access:  read_only
        .address_space:  global
        .offset:         16
        .size:           8
        .value_kind:     global_buffer
      - .actual_access:  read_only
        .address_space:  global
        .offset:         24
        .size:           8
        .value_kind:     global_buffer
      - .actual_access:  read_only
        .address_space:  global
        .offset:         32
        .size:           8
        .value_kind:     global_buffer
      - .offset:         40
        .size:           8
        .value_kind:     by_value
      - .actual_access:  read_only
        .address_space:  global
        .offset:         48
        .size:           8
        .value_kind:     global_buffer
      - .actual_access:  read_only
        .address_space:  global
        .offset:         56
        .size:           8
        .value_kind:     global_buffer
      - .offset:         64
        .size:           4
        .value_kind:     by_value
      - .actual_access:  read_only
        .address_space:  global
        .offset:         72
        .size:           8
        .value_kind:     global_buffer
      - .actual_access:  read_only
        .address_space:  global
        .offset:         80
        .size:           8
        .value_kind:     global_buffer
      - .actual_access:  read_only
        .address_space:  global
        .offset:         88
        .size:           8
        .value_kind:     global_buffer
      - .actual_access:  write_only
        .address_space:  global
        .offset:         96
        .size:           8
        .value_kind:     global_buffer
    .group_segment_fixed_size: 0
    .kernarg_segment_align: 8
    .kernarg_segment_size: 104
    .language:       OpenCL C
    .language_version:
      - 2
      - 0
    .max_flat_workgroup_size: 247
    .name:           fft_rtc_fwd_len39_factors_13_3_wgs_247_tpt_13_halfLds_dp_op_CI_CI_unitstride_sbrr_dirReg
    .private_segment_fixed_size: 0
    .sgpr_count:     42
    .sgpr_spill_count: 0
    .symbol:         fft_rtc_fwd_len39_factors_13_3_wgs_247_tpt_13_halfLds_dp_op_CI_CI_unitstride_sbrr_dirReg.kd
    .uniform_work_group_size: 1
    .uses_dynamic_stack: false
    .vgpr_count:     155
    .vgpr_spill_count: 0
    .wavefront_size: 32
    .workgroup_processor_mode: 1
amdhsa.target:   amdgcn-amd-amdhsa--gfx1201
amdhsa.version:
  - 1
  - 2
...

	.end_amdgpu_metadata
